;; amdgpu-corpus repo=ROCm/rocFFT kind=compiled arch=gfx1030 opt=O3
	.text
	.amdgcn_target "amdgcn-amd-amdhsa--gfx1030"
	.amdhsa_code_object_version 6
	.protected	fft_rtc_fwd_len238_factors_17_7_2_wgs_51_tpt_17_halfLds_sp_op_CI_CI_sbrr_dirReg ; -- Begin function fft_rtc_fwd_len238_factors_17_7_2_wgs_51_tpt_17_halfLds_sp_op_CI_CI_sbrr_dirReg
	.globl	fft_rtc_fwd_len238_factors_17_7_2_wgs_51_tpt_17_halfLds_sp_op_CI_CI_sbrr_dirReg
	.p2align	8
	.type	fft_rtc_fwd_len238_factors_17_7_2_wgs_51_tpt_17_halfLds_sp_op_CI_CI_sbrr_dirReg,@function
fft_rtc_fwd_len238_factors_17_7_2_wgs_51_tpt_17_halfLds_sp_op_CI_CI_sbrr_dirReg: ; @fft_rtc_fwd_len238_factors_17_7_2_wgs_51_tpt_17_halfLds_sp_op_CI_CI_sbrr_dirReg
; %bb.0:
	s_clause 0x1
	s_load_dwordx4 s[16:19], s[4:5], 0x18
	s_load_dwordx4 s[12:15], s[4:5], 0x0
	v_mul_u32_u24_e32 v1, 0xf10, v0
	v_mov_b32_e32 v5, 0
	v_mov_b32_e32 v42, 0
	v_mov_b32_e32 v43, 0
	s_load_dwordx4 s[8:11], s[4:5], 0x58
	s_waitcnt lgkmcnt(0)
	s_load_dwordx2 s[20:21], s[16:17], 0x0
	s_load_dwordx2 s[2:3], s[18:19], 0x0
	v_lshrrev_b32_e32 v1, 16, v1
	v_cmp_lt_u64_e64 s0, s[14:15], 2
	v_mad_u64_u32 v[40:41], null, s6, 3, v[1:2]
	v_mov_b32_e32 v41, v5
	v_mov_b32_e32 v1, v42
	;; [unrolled: 1-line block ×3, first 2 shown]
	s_and_b32 vcc_lo, exec_lo, s0
	v_mov_b32_e32 v3, v40
	v_mov_b32_e32 v4, v41
	s_cbranch_vccnz .LBB0_8
; %bb.1:
	s_load_dwordx2 s[0:1], s[4:5], 0x10
	v_mov_b32_e32 v42, 0
	v_mov_b32_e32 v43, 0
	s_add_u32 s6, s18, 8
	v_mov_b32_e32 v7, v40
	s_addc_u32 s7, s19, 0
	v_mov_b32_e32 v1, v42
	v_mov_b32_e32 v8, v41
	s_add_u32 s22, s16, 8
	v_mov_b32_e32 v2, v43
	s_addc_u32 s23, s17, 0
	s_mov_b64 s[26:27], 1
	s_waitcnt lgkmcnt(0)
	s_add_u32 s24, s0, 8
	s_addc_u32 s25, s1, 0
.LBB0_2:                                ; =>This Inner Loop Header: Depth=1
	s_load_dwordx2 s[28:29], s[24:25], 0x0
                                        ; implicit-def: $vgpr3_vgpr4
	s_mov_b32 s0, exec_lo
	s_waitcnt lgkmcnt(0)
	v_or_b32_e32 v6, s29, v8
	v_cmpx_ne_u64_e32 0, v[5:6]
	s_xor_b32 s1, exec_lo, s0
	s_cbranch_execz .LBB0_4
; %bb.3:                                ;   in Loop: Header=BB0_2 Depth=1
	v_cvt_f32_u32_e32 v3, s28
	v_cvt_f32_u32_e32 v4, s29
	s_sub_u32 s0, 0, s28
	s_subb_u32 s30, 0, s29
	v_fmac_f32_e32 v3, 0x4f800000, v4
	v_rcp_f32_e32 v3, v3
	v_mul_f32_e32 v3, 0x5f7ffffc, v3
	v_mul_f32_e32 v4, 0x2f800000, v3
	v_trunc_f32_e32 v4, v4
	v_fmac_f32_e32 v3, 0xcf800000, v4
	v_cvt_u32_f32_e32 v4, v4
	v_cvt_u32_f32_e32 v3, v3
	v_mul_lo_u32 v6, s0, v4
	v_mul_hi_u32 v9, s0, v3
	v_mul_lo_u32 v10, s30, v3
	v_add_nc_u32_e32 v6, v9, v6
	v_mul_lo_u32 v9, s0, v3
	v_add_nc_u32_e32 v6, v6, v10
	v_mul_hi_u32 v10, v3, v9
	v_mul_lo_u32 v11, v3, v6
	v_mul_hi_u32 v12, v3, v6
	v_mul_hi_u32 v13, v4, v9
	v_mul_lo_u32 v9, v4, v9
	v_mul_hi_u32 v14, v4, v6
	v_mul_lo_u32 v6, v4, v6
	v_add_co_u32 v10, vcc_lo, v10, v11
	v_add_co_ci_u32_e32 v11, vcc_lo, 0, v12, vcc_lo
	v_add_co_u32 v9, vcc_lo, v10, v9
	v_add_co_ci_u32_e32 v9, vcc_lo, v11, v13, vcc_lo
	v_add_co_ci_u32_e32 v10, vcc_lo, 0, v14, vcc_lo
	v_add_co_u32 v6, vcc_lo, v9, v6
	v_add_co_ci_u32_e32 v9, vcc_lo, 0, v10, vcc_lo
	v_add_co_u32 v3, vcc_lo, v3, v6
	v_add_co_ci_u32_e32 v4, vcc_lo, v4, v9, vcc_lo
	v_mul_hi_u32 v6, s0, v3
	v_mul_lo_u32 v10, s30, v3
	v_mul_lo_u32 v9, s0, v4
	v_add_nc_u32_e32 v6, v6, v9
	v_mul_lo_u32 v9, s0, v3
	v_add_nc_u32_e32 v6, v6, v10
	v_mul_hi_u32 v10, v3, v9
	v_mul_lo_u32 v11, v3, v6
	v_mul_hi_u32 v12, v3, v6
	v_mul_hi_u32 v13, v4, v9
	v_mul_lo_u32 v9, v4, v9
	v_mul_hi_u32 v14, v4, v6
	v_mul_lo_u32 v6, v4, v6
	v_add_co_u32 v10, vcc_lo, v10, v11
	v_add_co_ci_u32_e32 v11, vcc_lo, 0, v12, vcc_lo
	v_add_co_u32 v9, vcc_lo, v10, v9
	v_add_co_ci_u32_e32 v9, vcc_lo, v11, v13, vcc_lo
	v_add_co_ci_u32_e32 v10, vcc_lo, 0, v14, vcc_lo
	v_add_co_u32 v6, vcc_lo, v9, v6
	v_add_co_ci_u32_e32 v9, vcc_lo, 0, v10, vcc_lo
	v_add_co_u32 v6, vcc_lo, v3, v6
	v_add_co_ci_u32_e32 v11, vcc_lo, v4, v9, vcc_lo
	v_mul_hi_u32 v13, v7, v6
	v_mad_u64_u32 v[9:10], null, v8, v6, 0
	v_mad_u64_u32 v[3:4], null, v7, v11, 0
	v_mad_u64_u32 v[11:12], null, v8, v11, 0
	v_add_co_u32 v3, vcc_lo, v13, v3
	v_add_co_ci_u32_e32 v4, vcc_lo, 0, v4, vcc_lo
	v_add_co_u32 v3, vcc_lo, v3, v9
	v_add_co_ci_u32_e32 v3, vcc_lo, v4, v10, vcc_lo
	v_add_co_ci_u32_e32 v4, vcc_lo, 0, v12, vcc_lo
	v_add_co_u32 v6, vcc_lo, v3, v11
	v_add_co_ci_u32_e32 v9, vcc_lo, 0, v4, vcc_lo
	v_mul_lo_u32 v10, s29, v6
	v_mad_u64_u32 v[3:4], null, s28, v6, 0
	v_mul_lo_u32 v11, s28, v9
	v_sub_co_u32 v3, vcc_lo, v7, v3
	v_add3_u32 v4, v4, v11, v10
	v_sub_nc_u32_e32 v10, v8, v4
	v_subrev_co_ci_u32_e64 v10, s0, s29, v10, vcc_lo
	v_add_co_u32 v11, s0, v6, 2
	v_add_co_ci_u32_e64 v12, s0, 0, v9, s0
	v_sub_co_u32 v13, s0, v3, s28
	v_sub_co_ci_u32_e32 v4, vcc_lo, v8, v4, vcc_lo
	v_subrev_co_ci_u32_e64 v10, s0, 0, v10, s0
	v_cmp_le_u32_e32 vcc_lo, s28, v13
	v_cmp_eq_u32_e64 s0, s29, v4
	v_cndmask_b32_e64 v13, 0, -1, vcc_lo
	v_cmp_le_u32_e32 vcc_lo, s29, v10
	v_cndmask_b32_e64 v14, 0, -1, vcc_lo
	v_cmp_le_u32_e32 vcc_lo, s28, v3
	;; [unrolled: 2-line block ×3, first 2 shown]
	v_cndmask_b32_e64 v15, 0, -1, vcc_lo
	v_cmp_eq_u32_e32 vcc_lo, s29, v10
	v_cndmask_b32_e64 v3, v15, v3, s0
	v_cndmask_b32_e32 v10, v14, v13, vcc_lo
	v_add_co_u32 v13, vcc_lo, v6, 1
	v_add_co_ci_u32_e32 v14, vcc_lo, 0, v9, vcc_lo
	v_cmp_ne_u32_e32 vcc_lo, 0, v10
	v_cndmask_b32_e32 v4, v14, v12, vcc_lo
	v_cndmask_b32_e32 v10, v13, v11, vcc_lo
	v_cmp_ne_u32_e32 vcc_lo, 0, v3
	v_cndmask_b32_e32 v4, v9, v4, vcc_lo
	v_cndmask_b32_e32 v3, v6, v10, vcc_lo
.LBB0_4:                                ;   in Loop: Header=BB0_2 Depth=1
	s_andn2_saveexec_b32 s0, s1
	s_cbranch_execz .LBB0_6
; %bb.5:                                ;   in Loop: Header=BB0_2 Depth=1
	v_cvt_f32_u32_e32 v3, s28
	s_sub_i32 s1, 0, s28
	v_rcp_iflag_f32_e32 v3, v3
	v_mul_f32_e32 v3, 0x4f7ffffe, v3
	v_cvt_u32_f32_e32 v3, v3
	v_mul_lo_u32 v4, s1, v3
	v_mul_hi_u32 v4, v3, v4
	v_add_nc_u32_e32 v3, v3, v4
	v_mul_hi_u32 v3, v7, v3
	v_mul_lo_u32 v4, v3, s28
	v_add_nc_u32_e32 v6, 1, v3
	v_sub_nc_u32_e32 v4, v7, v4
	v_subrev_nc_u32_e32 v9, s28, v4
	v_cmp_le_u32_e32 vcc_lo, s28, v4
	v_cndmask_b32_e32 v4, v4, v9, vcc_lo
	v_cndmask_b32_e32 v3, v3, v6, vcc_lo
	v_cmp_le_u32_e32 vcc_lo, s28, v4
	v_add_nc_u32_e32 v6, 1, v3
	v_mov_b32_e32 v4, v5
	v_cndmask_b32_e32 v3, v3, v6, vcc_lo
.LBB0_6:                                ;   in Loop: Header=BB0_2 Depth=1
	s_or_b32 exec_lo, exec_lo, s0
	v_mul_lo_u32 v6, v4, s28
	v_mul_lo_u32 v11, v3, s29
	s_load_dwordx2 s[0:1], s[22:23], 0x0
	v_mad_u64_u32 v[9:10], null, v3, s28, 0
	s_load_dwordx2 s[28:29], s[6:7], 0x0
	s_add_u32 s26, s26, 1
	s_addc_u32 s27, s27, 0
	s_add_u32 s6, s6, 8
	s_addc_u32 s7, s7, 0
	s_add_u32 s22, s22, 8
	v_add3_u32 v6, v10, v11, v6
	v_sub_co_u32 v7, vcc_lo, v7, v9
	s_addc_u32 s23, s23, 0
	s_add_u32 s24, s24, 8
	v_sub_co_ci_u32_e32 v6, vcc_lo, v8, v6, vcc_lo
	s_addc_u32 s25, s25, 0
	s_waitcnt lgkmcnt(0)
	v_mul_lo_u32 v8, s0, v6
	v_mul_lo_u32 v9, s1, v7
	v_mad_u64_u32 v[42:43], null, s0, v7, v[42:43]
	v_mul_lo_u32 v6, s28, v6
	v_mul_lo_u32 v10, s29, v7
	v_mad_u64_u32 v[1:2], null, s28, v7, v[1:2]
	v_cmp_ge_u64_e64 s0, s[26:27], s[14:15]
	v_add3_u32 v43, v9, v43, v8
	v_add3_u32 v2, v10, v2, v6
	s_and_b32 vcc_lo, exec_lo, s0
	s_cbranch_vccnz .LBB0_8
; %bb.7:                                ;   in Loop: Header=BB0_2 Depth=1
	v_mov_b32_e32 v8, v4
	v_mov_b32_e32 v7, v3
	s_branch .LBB0_2
.LBB0_8:
	s_load_dwordx2 s[0:1], s[4:5], 0x28
	v_mul_hi_u32 v5, 0xf0f0f10, v0
	s_lshl_b64 s[6:7], s[14:15], 3
	v_mov_b32_e32 v25, 0
	v_mov_b32_e32 v24, 0
	s_add_u32 s4, s18, s6
	s_addc_u32 s5, s19, s7
                                        ; implicit-def: $vgpr31
                                        ; implicit-def: $vgpr29
                                        ; implicit-def: $vgpr21
                                        ; implicit-def: $vgpr23
                                        ; implicit-def: $vgpr17
                                        ; implicit-def: $vgpr13
                                        ; implicit-def: $vgpr7
                                        ; implicit-def: $vgpr9
                                        ; implicit-def: $vgpr11
                                        ; implicit-def: $vgpr15
                                        ; implicit-def: $vgpr19
                                        ; implicit-def: $vgpr27
                                        ; implicit-def: $vgpr37
                                        ; implicit-def: $vgpr39
                                        ; implicit-def: $vgpr35
                                        ; implicit-def: $vgpr33
	v_mul_u32_u24_e32 v5, 17, v5
	v_sub_nc_u32_e32 v5, v0, v5
	s_waitcnt lgkmcnt(0)
	v_cmp_gt_u64_e32 vcc_lo, s[0:1], v[3:4]
	v_cmp_gt_u32_e64 s0, 14, v5
	s_and_b32 s1, vcc_lo, s0
	s_and_saveexec_b32 s14, s1
	s_cbranch_execz .LBB0_10
; %bb.9:
	s_add_u32 s6, s16, s6
	s_addc_u32 s7, s17, s7
	v_add_nc_u32_e32 v20, 14, v5
	s_load_dwordx2 s[6:7], s[6:7], 0x0
	v_mad_u64_u32 v[6:7], null, s20, v5, 0
	v_add_nc_u32_e32 v21, 28, v5
	v_mad_u64_u32 v[10:11], null, s20, v20, 0
	v_add_nc_u32_e32 v22, 42, v5
	v_lshlrev_b64 v[8:9], 3, v[42:43]
	v_mad_u64_u32 v[12:13], null, s20, v21, 0
	v_mov_b32_e32 v0, v7
	v_mad_u64_u32 v[14:15], null, s20, v22, 0
	v_mov_b32_e32 v7, v11
	v_add_nc_u32_e32 v23, 56, v5
	v_mad_u64_u32 v[18:19], null, s21, v5, v[0:1]
	v_mov_b32_e32 v0, v13
	v_mad_u64_u32 v[19:20], null, s21, v20, v[7:8]
	s_waitcnt lgkmcnt(0)
	v_mul_lo_u32 v24, s7, v3
	v_mul_lo_u32 v25, s6, v4
	v_mad_u64_u32 v[16:17], null, s6, v3, 0
	v_mov_b32_e32 v11, v15
	v_mad_u64_u32 v[20:21], null, s21, v21, v[0:1]
	v_mov_b32_e32 v7, v18
	v_add_nc_u32_e32 v21, 0x46, v5
	v_add_nc_u32_e32 v26, 0x54, v5
	v_add3_u32 v17, v17, v25, v24
	v_add_nc_u32_e32 v27, 0x62, v5
	v_lshlrev_b64 v[6:7], 3, v[6:7]
	v_mov_b32_e32 v13, v20
	v_add_nc_u32_e32 v36, 0x8c, v5
	v_lshlrev_b64 v[15:16], 3, v[16:17]
	v_mad_u64_u32 v[17:18], null, s21, v22, v[11:12]
	v_mov_b32_e32 v11, v19
	v_mad_u64_u32 v[18:19], null, s20, v21, 0
	v_add_co_u32 v0, s1, s8, v15
	v_add_co_ci_u32_e64 v15, s1, s9, v16, s1
	v_lshlrev_b64 v[10:11], 3, v[10:11]
	v_add_co_u32 v46, s1, v0, v8
	v_add_co_ci_u32_e64 v47, s1, v15, v9, s1
	v_lshlrev_b64 v[8:9], 3, v[12:13]
	v_mad_u64_u32 v[12:13], null, s20, v23, 0
	v_mov_b32_e32 v15, v17
	v_add_co_u32 v6, s1, v46, v6
	v_add_co_ci_u32_e64 v7, s1, v47, v7, s1
	v_lshlrev_b64 v[14:15], 3, v[14:15]
	v_mov_b32_e32 v0, v13
	v_mov_b32_e32 v13, v19
	v_add_co_u32 v10, s1, v46, v10
	v_add_co_ci_u32_e64 v11, s1, v47, v11, s1
	v_mad_u64_u32 v[16:17], null, s21, v23, v[0:1]
	v_mad_u64_u32 v[19:20], null, s21, v21, v[13:14]
	v_add_co_u32 v8, s1, v46, v8
	v_add_co_ci_u32_e64 v9, s1, v47, v9, s1
	v_mov_b32_e32 v13, v16
	v_mad_u64_u32 v[16:17], null, s20, v26, 0
	v_add_co_u32 v14, s1, v46, v14
	v_add_co_ci_u32_e64 v15, s1, v47, v15, s1
	v_mad_u64_u32 v[22:23], null, s20, v27, 0
	v_mov_b32_e32 v0, v17
	s_clause 0x3
	global_load_dwordx2 v[24:25], v[6:7], off
	global_load_dwordx2 v[30:31], v[10:11], off
	;; [unrolled: 1-line block ×4, first 2 shown]
	v_lshlrev_b64 v[6:7], 3, v[12:13]
	v_lshlrev_b64 v[8:9], 3, v[18:19]
	v_or_b32_e32 v18, 0x70, v5
	v_mad_u64_u32 v[11:12], null, s21, v26, v[0:1]
	v_mov_b32_e32 v10, v23
	v_add_co_u32 v6, s1, v46, v6
	v_mad_u64_u32 v[14:15], null, s20, v18, 0
	v_add_co_ci_u32_e64 v7, s1, v47, v7, s1
	v_mov_b32_e32 v17, v11
	v_mad_u64_u32 v[12:13], null, s21, v27, v[10:11]
	v_mad_u64_u32 v[32:33], null, s20, v36, 0
	v_mov_b32_e32 v0, v15
	v_lshlrev_b64 v[10:11], 3, v[16:17]
	v_add_nc_u32_e32 v17, 0x7e, v5
	v_add_co_u32 v8, s1, v46, v8
	v_mad_u64_u32 v[15:16], null, s21, v18, v[0:1]
	v_mad_u64_u32 v[18:19], null, s20, v17, 0
	v_mov_b32_e32 v23, v12
	v_add_co_ci_u32_e64 v9, s1, v47, v9, s1
	v_add_co_u32 v10, s1, v46, v10
	v_lshlrev_b64 v[12:13], 3, v[22:23]
	v_mov_b32_e32 v0, v19
	v_add_co_ci_u32_e64 v11, s1, v47, v11, s1
	v_add_nc_u32_e32 v41, 0xb6, v5
	v_add_nc_u32_e32 v43, 0xc4, v5
	v_mad_u64_u32 v[34:35], null, s21, v17, v[0:1]
	v_add_nc_u32_e32 v35, 0x9a, v5
	v_add_co_u32 v26, s1, v46, v12
	v_mov_b32_e32 v0, v33
	v_add_co_ci_u32_e64 v27, s1, v47, v13, s1
	s_clause 0x3
	global_load_dwordx2 v[22:23], v[6:7], off
	global_load_dwordx2 v[16:17], v[8:9], off
	;; [unrolled: 1-line block ×4, first 2 shown]
	v_mad_u64_u32 v[10:11], null, s20, v35, 0
	v_lshlrev_b64 v[8:9], 3, v[14:15]
	v_mad_u64_u32 v[14:15], null, s21, v36, v[0:1]
	v_add_nc_u32_e32 v36, 0xa8, v5
	v_mov_b32_e32 v19, v34
	v_add_nc_u32_e32 v48, 0xd2, v5
	v_mov_b32_e32 v0, v11
	v_add_co_u32 v8, s1, v46, v8
	v_mov_b32_e32 v33, v14
	v_mad_u64_u32 v[26:27], null, s20, v36, 0
	v_lshlrev_b64 v[18:19], 3, v[18:19]
	v_mad_u64_u32 v[14:15], null, s21, v35, v[0:1]
	v_lshlrev_b64 v[32:33], 3, v[32:33]
	v_add_co_ci_u32_e64 v9, s1, v47, v9, s1
	v_add_co_u32 v18, s1, v46, v18
	v_mov_b32_e32 v0, v27
	v_mad_u64_u32 v[34:35], null, s20, v41, 0
	v_add_co_ci_u32_e64 v19, s1, v47, v19, s1
	v_mov_b32_e32 v11, v14
	v_add_co_u32 v14, s1, v46, v32
	v_add_co_ci_u32_e64 v15, s1, v47, v33, s1
	v_mad_u64_u32 v[32:33], null, s21, v36, v[0:1]
	v_mad_u64_u32 v[36:37], null, s20, v43, 0
	v_mov_b32_e32 v0, v35
	v_or_b32_e32 v49, 0xe0, v5
	v_lshlrev_b64 v[10:11], 3, v[10:11]
	v_mov_b32_e32 v27, v32
	v_mad_u64_u32 v[32:33], null, s21, v41, v[0:1]
	v_mov_b32_e32 v0, v37
	v_mad_u64_u32 v[41:42], null, s20, v48, 0
	v_add_co_u32 v38, s1, v46, v10
	v_mad_u64_u32 v[43:44], null, s21, v43, v[0:1]
	v_mad_u64_u32 v[44:45], null, s20, v49, 0
	v_mov_b32_e32 v0, v42
	v_mov_b32_e32 v35, v32
	v_add_co_ci_u32_e64 v39, s1, v47, v11, s1
	v_lshlrev_b64 v[26:27], 3, v[26:27]
	v_mad_u64_u32 v[32:33], null, s21, v48, v[0:1]
	v_mov_b32_e32 v0, v45
	s_clause 0x3
	global_load_dwordx2 v[8:9], v[8:9], off
	global_load_dwordx2 v[10:11], v[18:19], off
	;; [unrolled: 1-line block ×4, first 2 shown]
	v_mov_b32_e32 v37, v43
	v_lshlrev_b64 v[33:34], 3, v[34:35]
	v_add_co_u32 v26, s1, v46, v26
	v_mad_u64_u32 v[38:39], null, s21, v49, v[0:1]
	v_lshlrev_b64 v[35:36], 3, v[36:37]
	v_mov_b32_e32 v42, v32
	v_add_co_ci_u32_e64 v27, s1, v47, v27, s1
	v_add_co_u32 v32, s1, v46, v33
	v_mov_b32_e32 v45, v38
	v_add_co_ci_u32_e64 v33, s1, v47, v34, s1
	v_lshlrev_b64 v[41:42], 3, v[41:42]
	v_add_co_u32 v34, s1, v46, v35
	v_add_co_ci_u32_e64 v35, s1, v47, v36, s1
	v_lshlrev_b64 v[36:37], 3, v[44:45]
	v_add_co_u32 v38, s1, v46, v41
	v_add_co_ci_u32_e64 v39, s1, v47, v42, s1
	v_add_co_u32 v36, s1, v46, v36
	v_add_co_ci_u32_e64 v37, s1, v47, v37, s1
	s_clause 0x4
	global_load_dwordx2 v[26:27], v[26:27], off
	global_load_dwordx2 v[32:33], v[32:33], off
	;; [unrolled: 1-line block ×5, first 2 shown]
.LBB0_10:
	s_or_b32 exec_lo, exec_lo, s14
	v_mul_hi_u32 v0, 0xaaaaaaab, v40
	v_lshrrev_b32_e32 v0, 1, v0
	v_lshl_add_u32 v0, v0, 1, v0
	v_sub_nc_u32_e32 v0, v40, v0
	v_mul_u32_u24_e32 v0, 0xee, v0
	v_lshlrev_b32_e32 v0, 2, v0
	s_and_saveexec_b32 s1, s0
	s_cbranch_execz .LBB0_12
; %bb.11:
	s_waitcnt vmcnt(0)
	v_sub_f32_e32 v65, v31, v37
	v_add_f32_e32 v57, v30, v36
	v_sub_f32_e32 v66, v29, v39
	v_add_f32_e32 v56, v28, v38
	v_sub_f32_e32 v64, v21, v35
	v_mul_f32_e32 v40, 0xbe3c28d5, v65
	v_add_f32_e32 v55, v20, v34
	v_mul_f32_e32 v41, 0x3eb8f4ab, v66
	v_sub_f32_e32 v61, v23, v33
	v_mul_f32_e32 v43, 0xbf06c442, v64
	v_fmamk_f32 v42, v57, 0xbf7ba420, v40
	v_fma_f32 v40, 0xbf7ba420, v57, -v40
	v_fmamk_f32 v44, v56, 0x3f6eb680, v41
	v_add_f32_e32 v54, v22, v32
	v_sub_f32_e32 v60, v17, v27
	v_add_f32_e32 v42, v24, v42
	v_mul_f32_e32 v45, 0x3f2c7751, v61
	v_fmamk_f32 v46, v55, 0xbf59a7d5, v43
	v_fma_f32 v41, 0x3f6eb680, v56, -v41
	v_add_f32_e32 v40, v24, v40
	v_add_f32_e32 v42, v42, v44
	;; [unrolled: 1-line block ×3, first 2 shown]
	v_mul_f32_e32 v44, 0xbf4c4adb, v60
	v_fmamk_f32 v47, v54, 0x3f3d2fb0, v45
	v_fma_f32 v43, 0xbf59a7d5, v55, -v43
	v_add_f32_e32 v42, v42, v46
	v_add_f32_e32 v40, v40, v41
	v_fmamk_f32 v41, v53, 0xbf1a4643, v44
	v_fma_f32 v45, 0x3f3d2fb0, v54, -v45
	v_sub_f32_e32 v62, v13, v19
	v_add_f32_e32 v42, v42, v47
	v_add_f32_e32 v40, v40, v43
	;; [unrolled: 1-line block ×3, first 2 shown]
	v_sub_f32_e32 v63, v7, v15
	v_mul_f32_e32 v43, 0x3f65296c, v62
	v_add_f32_e32 v41, v41, v42
	v_add_f32_e32 v40, v40, v45
	v_fma_f32 v42, 0xbf1a4643, v53, -v44
	v_add_f32_e32 v51, v6, v14
	v_fmamk_f32 v44, v58, 0x3ee437d1, v43
	v_mul_f32_e32 v45, 0xbf763a35, v63
	v_sub_f32_e32 v52, v9, v11
	v_add_f32_e32 v40, v42, v40
	v_mul_f32_e32 v42, 0xbf06c442, v65
	v_fma_f32 v43, 0x3ee437d1, v58, -v43
	v_mul_f32_e32 v47, 0x3f65296c, v66
	v_add_f32_e32 v41, v44, v41
	v_fmamk_f32 v44, v51, 0xbe8c1d8e, v45
	v_fmamk_f32 v46, v57, 0xbf59a7d5, v42
	v_fma_f32 v42, 0xbf59a7d5, v57, -v42
	v_add_f32_e32 v50, v8, v10
	v_mul_f32_e32 v48, 0x3f7ee86f, v52
	v_add_f32_e32 v40, v43, v40
	v_add_f32_e32 v43, v24, v46
	v_fmamk_f32 v46, v56, 0x3ee437d1, v47
	v_mul_f32_e32 v49, 0xbf7ee86f, v64
	v_add_f32_e32 v42, v24, v42
	v_fma_f32 v47, 0x3ee437d1, v56, -v47
	v_fma_f32 v45, 0xbe8c1d8e, v51, -v45
	v_add_f32_e32 v41, v44, v41
	v_add_f32_e32 v43, v43, v46
	v_fmamk_f32 v44, v55, 0x3dbcf732, v49
	v_add_f32_e32 v42, v42, v47
	v_mul_f32_e32 v46, 0x3f4c4adb, v61
	v_fma_f32 v47, 0x3dbcf732, v55, -v49
	v_fmamk_f32 v49, v50, 0x3dbcf732, v48
	v_add_f32_e32 v45, v45, v40
	v_fma_f32 v48, 0x3dbcf732, v50, -v48
	v_add_f32_e32 v43, v43, v44
	v_fmamk_f32 v44, v54, 0xbf1a4643, v46
	v_add_f32_e32 v42, v42, v47
	v_mul_f32_e32 v47, 0xbeb8f4ab, v60
	v_fma_f32 v46, 0xbf1a4643, v54, -v46
	v_add_f32_e32 v40, v49, v41
	v_add_f32_e32 v41, v48, v45
	v_mul_f32_e32 v45, 0xbf4c4adb, v65
	v_add_f32_e32 v43, v43, v44
	v_fmamk_f32 v44, v53, 0x3f6eb680, v47
	v_add_f32_e32 v42, v42, v46
	v_mul_f32_e32 v46, 0xbe3c28d5, v62
	v_fma_f32 v47, 0x3f6eb680, v53, -v47
	v_fmamk_f32 v48, v57, 0xbf1a4643, v45
	v_mul_f32_e32 v49, 0x3f763a35, v66
	v_add_f32_e32 v43, v44, v43
	v_fmamk_f32 v44, v58, 0xbf7ba420, v46
	v_add_f32_e32 v42, v47, v42
	v_mul_f32_e32 v47, 0x3f2c7751, v63
	v_fma_f32 v46, 0xbf7ba420, v58, -v46
	v_add_f32_e32 v48, v24, v48
	v_fmamk_f32 v59, v56, 0xbe8c1d8e, v49
	v_mul_f32_e32 v67, 0xbeb8f4ab, v64
	v_add_f32_e32 v43, v44, v43
	v_fmamk_f32 v44, v51, 0x3f3d2fb0, v47
	v_add_f32_e32 v42, v46, v42
	v_mul_f32_e32 v46, 0xbf763a35, v52
	v_add_f32_e32 v48, v48, v59
	v_fmamk_f32 v59, v55, 0x3f6eb680, v67
	v_mul_f32_e32 v68, 0xbf06c442, v61
	v_fma_f32 v47, 0x3f3d2fb0, v51, -v47
	v_add_f32_e32 v43, v44, v43
	v_fmamk_f32 v44, v50, 0xbe8c1d8e, v46
	v_add_f32_e32 v48, v48, v59
	v_fmamk_f32 v59, v54, 0xbf59a7d5, v68
	v_mul_f32_e32 v69, 0x3f7ee86f, v60
	v_add_f32_e32 v47, v47, v42
	v_fma_f32 v46, 0xbe8c1d8e, v50, -v46
	v_add_f32_e32 v42, v44, v43
	v_fma_f32 v44, 0xbf1a4643, v57, -v45
	v_add_f32_e32 v45, v48, v59
	v_fmamk_f32 v48, v53, 0x3dbcf732, v69
	v_mul_f32_e32 v59, 0xbf2c7751, v62
	v_add_f32_e32 v43, v46, v47
	v_add_f32_e32 v44, v24, v44
	v_fma_f32 v46, 0xbe8c1d8e, v56, -v49
	v_add_f32_e32 v45, v48, v45
	v_fmamk_f32 v47, v58, 0x3f3d2fb0, v59
	v_mul_f32_e32 v48, 0xbf763a35, v65
	v_mul_f32_e32 v49, 0xbe3c28d5, v63
	v_add_f32_e32 v44, v44, v46
	v_fma_f32 v46, 0x3f6eb680, v55, -v67
	v_add_f32_e32 v45, v47, v45
	v_fmamk_f32 v47, v57, 0xbe8c1d8e, v48
	v_mul_f32_e32 v67, 0x3f06c442, v66
	v_fmamk_f32 v70, v51, 0xbf7ba420, v49
	v_add_f32_e32 v44, v44, v46
	v_fma_f32 v46, 0xbf59a7d5, v54, -v68
	v_add_f32_e32 v47, v24, v47
	v_fmamk_f32 v68, v56, 0xbf59a7d5, v67
	v_mul_f32_e32 v71, 0x3f2c7751, v64
	v_add_f32_e32 v45, v70, v45
	v_add_f32_e32 v44, v44, v46
	v_fma_f32 v46, 0x3dbcf732, v53, -v69
	v_add_f32_e32 v47, v47, v68
	v_fmamk_f32 v68, v55, 0x3f3d2fb0, v71
	v_mul_f32_e32 v69, 0xbf65296c, v61
	v_mul_f32_e32 v70, 0x3f65296c, v52
	v_add_f32_e32 v44, v46, v44
	v_fma_f32 v46, 0x3f3d2fb0, v58, -v59
	v_add_f32_e32 v47, v47, v68
	v_fmamk_f32 v59, v54, 0x3ee437d1, v69
	v_mul_f32_e32 v68, 0xbe3c28d5, v60
	v_fmamk_f32 v72, v50, 0x3ee437d1, v70
	v_add_f32_e32 v46, v46, v44
	v_fma_f32 v49, 0xbf7ba420, v51, -v49
	v_add_f32_e32 v47, v47, v59
	v_fmamk_f32 v59, v53, 0xbf7ba420, v68
	v_add_f32_e32 v44, v72, v45
	v_fma_f32 v45, 0xbe8c1d8e, v57, -v48
	v_mul_f32_e32 v73, 0x3f7ee86f, v62
	v_add_f32_e32 v46, v49, v46
	v_add_f32_e32 v47, v59, v47
	v_fma_f32 v59, 0xbf59a7d5, v56, -v67
	v_add_f32_e32 v45, v24, v45
	v_fmamk_f32 v48, v58, 0x3dbcf732, v73
	v_mul_f32_e32 v49, 0xbeb8f4ab, v63
	v_fma_f32 v67, 0x3ee437d1, v50, -v70
	v_fma_f32 v71, 0x3f3d2fb0, v55, -v71
	v_add_f32_e32 v59, v45, v59
	v_add_f32_e32 v47, v48, v47
	v_fmamk_f32 v48, v51, 0x3f6eb680, v49
	v_mul_f32_e32 v70, 0xbf7ee86f, v65
	v_add_f32_e32 v45, v67, v46
	v_add_f32_e32 v59, v59, v71
	v_fma_f32 v67, 0x3ee437d1, v54, -v69
	v_add_f32_e32 v46, v48, v47
	v_fmamk_f32 v47, v57, 0x3dbcf732, v70
	v_mul_f32_e32 v48, 0xbe3c28d5, v66
	v_mul_f32_e32 v69, 0xbf4c4adb, v52
	v_add_f32_e32 v59, v59, v67
	v_fma_f32 v67, 0xbf7ba420, v53, -v68
	v_add_f32_e32 v47, v24, v47
	v_fmamk_f32 v71, v56, 0xbf7ba420, v48
	v_mul_f32_e32 v72, 0x3f763a35, v64
	v_fmamk_f32 v68, v50, 0xbf1a4643, v69
	v_add_f32_e32 v59, v67, v59
	v_fma_f32 v67, 0x3dbcf732, v58, -v73
	v_add_f32_e32 v47, v47, v71
	v_fmamk_f32 v71, v55, 0xbe8c1d8e, v72
	v_mul_f32_e32 v74, 0x3eb8f4ab, v61
	v_fma_f32 v49, 0x3f6eb680, v51, -v49
	v_add_f32_e32 v59, v67, v59
	v_fma_f32 v67, 0x3dbcf732, v57, -v70
	v_add_f32_e32 v46, v68, v46
	v_add_f32_e32 v47, v47, v71
	v_fmamk_f32 v68, v54, 0x3f6eb680, v74
	v_mul_f32_e32 v71, 0xbf65296c, v60
	v_add_f32_e32 v49, v49, v59
	v_add_f32_e32 v59, v24, v67
	v_fma_f32 v48, 0xbf7ba420, v56, -v48
	v_add_f32_e32 v47, v47, v68
	v_fmamk_f32 v68, v53, 0x3ee437d1, v71
	v_mul_f32_e32 v70, 0xbf06c442, v62
	v_fma_f32 v69, 0xbf1a4643, v50, -v69
	v_add_f32_e32 v48, v59, v48
	v_fma_f32 v59, 0xbe8c1d8e, v55, -v72
	v_add_f32_e32 v47, v68, v47
	v_fmamk_f32 v67, v58, 0xbf59a7d5, v70
	v_mul_f32_e32 v68, 0x3f4c4adb, v63
	v_mul_f32_e32 v73, 0xbf4c4adb, v66
	v_add_f32_e32 v48, v48, v59
	v_fma_f32 v59, 0x3f6eb680, v54, -v74
	v_add_f32_e32 v67, v67, v47
	v_fmamk_f32 v72, v51, 0xbf1a4643, v68
	v_add_f32_e32 v47, v69, v49
	v_mul_f32_e32 v49, 0xbf65296c, v65
	v_add_f32_e32 v48, v48, v59
	v_fma_f32 v59, 0x3ee437d1, v53, -v71
	v_add_f32_e32 v67, v72, v67
	v_mul_f32_e32 v69, 0x3f2c7751, v52
	v_fmamk_f32 v72, v57, 0x3ee437d1, v49
	v_fma_f32 v70, 0xbf59a7d5, v58, -v70
	v_add_f32_e32 v59, v59, v48
	v_fmamk_f32 v74, v56, 0xbf1a4643, v73
	v_fmamk_f32 v71, v50, 0x3f3d2fb0, v69
	v_add_f32_e32 v72, v24, v72
	v_mul_f32_e32 v75, 0x3e3c28d5, v64
	v_add_f32_e32 v59, v70, v59
	v_fma_f32 v68, 0xbf1a4643, v51, -v68
	v_fma_f32 v49, 0x3ee437d1, v57, -v49
	v_add_f32_e32 v48, v71, v67
	v_add_f32_e32 v67, v72, v74
	v_fmamk_f32 v71, v55, 0xbf7ba420, v75
	v_mul_f32_e32 v72, 0x3f763a35, v61
	v_add_f32_e32 v59, v68, v59
	v_add_f32_e32 v49, v24, v49
	v_fma_f32 v68, 0xbf1a4643, v56, -v73
	v_add_f32_e32 v67, v67, v71
	v_fmamk_f32 v70, v54, 0xbe8c1d8e, v72
	v_mul_f32_e32 v71, 0x3f2c7751, v60
	v_fma_f32 v69, 0x3f3d2fb0, v50, -v69
	v_add_f32_e32 v68, v49, v68
	v_fma_f32 v74, 0xbf7ba420, v55, -v75
	v_add_f32_e32 v67, v67, v70
	v_fmamk_f32 v70, v53, 0x3f3d2fb0, v71
	v_mul_f32_e32 v73, 0xbeb8f4ab, v62
	v_add_f32_e32 v49, v69, v59
	v_add_f32_e32 v68, v68, v74
	v_fma_f32 v69, 0xbe8c1d8e, v54, -v72
	v_add_f32_e32 v67, v70, v67
	v_fmamk_f32 v70, v58, 0x3f6eb680, v73
	v_mul_f32_e32 v59, 0xbf2c7751, v65
	v_mul_f32_e32 v74, 0xbf7ee86f, v66
	v_add_f32_e32 v68, v68, v69
	v_fma_f32 v69, 0x3f3d2fb0, v53, -v71
	v_add_f32_e32 v67, v70, v67
	v_mul_f32_e32 v70, 0xbf7ee86f, v63
	v_fmamk_f32 v72, v57, 0x3f3d2fb0, v59
	v_fma_f32 v59, 0x3f3d2fb0, v57, -v59
	v_add_f32_e32 v68, v69, v68
	v_fma_f32 v69, 0x3f6eb680, v58, -v73
	v_fmamk_f32 v71, v51, 0x3dbcf732, v70
	v_fma_f32 v70, 0x3dbcf732, v51, -v70
	v_add_f32_e32 v72, v24, v72
	v_fmamk_f32 v75, v56, 0x3dbcf732, v74
	v_add_f32_e32 v69, v69, v68
	v_mul_f32_e32 v68, 0xbf06c442, v52
	v_mul_f32_e32 v76, 0xbf4c4adb, v64
	v_add_f32_e32 v78, v24, v59
	v_add_f32_e32 v67, v71, v67
	;; [unrolled: 1-line block ×3, first 2 shown]
	v_fma_f32 v70, 0xbf59a7d5, v50, -v68
	v_add_f32_e32 v71, v72, v75
	v_fmamk_f32 v72, v55, 0xbf1a4643, v76
	v_mul_f32_e32 v73, 0xbe3c28d5, v61
	v_mul_f32_e32 v75, 0x3f06c442, v60
	v_add_f32_e32 v59, v70, v69
	v_add_f32_e32 v70, v24, v30
	;; [unrolled: 1-line block ×3, first 2 shown]
	v_fmamk_f32 v72, v54, 0xbf7ba420, v73
	v_fma_f32 v74, 0x3dbcf732, v56, -v74
	v_mul_f32_e32 v65, 0xbeb8f4ab, v65
	v_add_f32_e32 v70, v70, v28
	v_mul_f32_e32 v66, 0xbf2c7751, v66
	v_add_f32_e32 v71, v71, v72
	v_fmamk_f32 v72, v53, 0xbf59a7d5, v75
	v_mul_f32_e32 v64, 0xbf65296c, v64
	v_add_f32_e32 v70, v70, v20
	v_mul_f32_e32 v61, 0xbf7ee86f, v61
	v_fma_f32 v73, 0xbf7ba420, v54, -v73
	v_add_f32_e32 v69, v72, v71
	v_add_f32_e32 v72, v78, v74
	;; [unrolled: 1-line block ×3, first 2 shown]
	v_fma_f32 v74, 0xbf1a4643, v55, -v76
	v_fmamk_f32 v78, v56, 0x3f3d2fb0, v66
	v_fma_f32 v56, 0x3f3d2fb0, v56, -v66
	v_mul_f32_e32 v77, 0x3f763a35, v62
	v_add_f32_e32 v70, v70, v16
	v_add_f32_e32 v72, v72, v74
	v_fmamk_f32 v74, v57, 0x3f6eb680, v65
	v_fma_f32 v57, 0x3f6eb680, v57, -v65
	v_fmamk_f32 v65, v55, 0x3ee437d1, v64
	v_add_f32_e32 v70, v70, v12
	v_fma_f32 v55, 0x3ee437d1, v55, -v64
	v_add_f32_e32 v74, v24, v74
	v_add_f32_e32 v24, v24, v57
	;; [unrolled: 1-line block ×4, first 2 shown]
	v_fmamk_f32 v70, v54, 0x3dbcf732, v61
	v_add_f32_e32 v74, v74, v78
	v_add_f32_e32 v24, v24, v56
	v_mul_f32_e32 v56, 0xbf763a35, v60
	v_add_f32_e32 v60, v66, v8
	v_fma_f32 v54, 0x3dbcf732, v54, -v61
	v_fma_f32 v73, 0xbf59a7d5, v53, -v75
	v_add_f32_e32 v24, v24, v55
	v_add_f32_e32 v65, v74, v65
	;; [unrolled: 1-line block ×3, first 2 shown]
	v_fmamk_f32 v66, v53, 0xbe8c1d8e, v56
	v_fma_f32 v53, 0xbe8c1d8e, v53, -v56
	v_add_f32_e32 v24, v24, v54
	v_fmamk_f32 v71, v58, 0xbe8c1d8e, v77
	v_add_f32_e32 v55, v55, v14
	v_add_f32_e32 v65, v65, v70
	v_mul_f32_e32 v60, 0xbf4c4adb, v62
	v_add_f32_e32 v24, v53, v24
	v_add_f32_e32 v69, v71, v69
	;; [unrolled: 1-line block ×3, first 2 shown]
	v_mul_f32_e32 v71, 0x3f65296c, v63
	v_add_f32_e32 v57, v73, v72
	v_fma_f32 v64, 0xbe8c1d8e, v58, -v77
	v_add_f32_e32 v61, v66, v65
	v_add_f32_e32 v53, v55, v26
	v_fmamk_f32 v62, v58, 0xbf1a4643, v60
	v_mul_f32_e32 v54, 0xbf06c442, v63
	v_fma_f32 v55, 0xbf1a4643, v58, -v60
	v_fmamk_f32 v76, v51, 0x3ee437d1, v71
	v_add_f32_e32 v53, v53, v32
	v_add_f32_e32 v57, v64, v57
	v_fma_f32 v56, 0x3ee437d1, v51, -v71
	v_add_f32_e32 v61, v62, v61
	v_fmamk_f32 v62, v51, 0xbf59a7d5, v54
	v_add_f32_e32 v24, v55, v24
	v_mul_f32_e32 v55, 0x3eb8f4ab, v52
	v_fma_f32 v51, 0xbf59a7d5, v51, -v54
	v_mul_f32_e32 v52, 0xbe3c28d5, v52
	v_add_f32_e32 v53, v34, v53
	v_add_f32_e32 v56, v56, v57
	;; [unrolled: 1-line block ×4, first 2 shown]
	v_fma_f32 v51, 0xbf7ba420, v50, -v52
	v_add_f32_e32 v53, v38, v53
	v_mul_u32_u24_e32 v61, 0x44, v5
	v_fmamk_f32 v60, v50, 0x3f6eb680, v55
	v_fma_f32 v55, 0x3f6eb680, v50, -v55
	v_add_f32_e32 v58, v76, v69
	v_fmamk_f32 v54, v50, 0xbf59a7d5, v68
	v_fmamk_f32 v50, v50, 0xbf7ba420, v52
	v_add_f32_e32 v24, v51, v24
	v_add_f32_e32 v51, v36, v53
	v_add3_u32 v52, 0, v61, v0
	v_add_f32_e32 v53, v55, v56
	v_add_f32_e32 v54, v54, v67
	;; [unrolled: 1-line block ×4, first 2 shown]
	ds_write2_b32 v52, v51, v24 offset1:1
	ds_write2_b32 v52, v53, v59 offset0:2 offset1:3
	ds_write2_b32 v52, v49, v47 offset0:4 offset1:5
	;; [unrolled: 1-line block ×7, first 2 shown]
	ds_write_b32 v52, v50 offset:64
.LBB0_12:
	s_or_b32 exec_lo, exec_lo, s1
	v_lshlrev_b32_e32 v40, 2, v5
	s_waitcnt vmcnt(0) lgkmcnt(0)
	s_barrier
	buffer_gl0_inv
	v_add_nc_u32_e32 v55, 0, v40
	v_add3_u32 v52, 0, v0, v40
	v_add_nc_u32_e32 v24, v55, v0
	ds_read2_b32 v[40:41], v24 offset0:17 offset1:34
	ds_read2_b32 v[50:51], v24 offset0:51 offset1:68
	;; [unrolled: 1-line block ×6, first 2 shown]
	ds_read_b32 v53, v52
	ds_read_b32 v54, v24 offset:884
	s_waitcnt lgkmcnt(0)
	s_barrier
	buffer_gl0_inv
	s_and_saveexec_b32 s1, s0
	s_cbranch_execz .LBB0_14
; %bb.13:
	v_add_f32_e32 v56, v25, v31
	v_sub_f32_e32 v30, v30, v36
	v_add_f32_e32 v36, v29, v39
	v_add_f32_e32 v31, v31, v37
	v_sub_f32_e32 v28, v28, v38
	v_add_f32_e32 v29, v56, v29
	v_mul_f32_e32 v38, 0xbeb8f4ab, v30
	v_mul_f32_e32 v56, 0xbf2c7751, v30
	;; [unrolled: 1-line block ×4, first 2 shown]
	v_add_f32_e32 v29, v29, v21
	v_mul_f32_e32 v59, 0xbf763a35, v30
	v_mul_f32_e32 v60, 0xbf4c4adb, v30
	;; [unrolled: 1-line block ×4, first 2 shown]
	v_add_f32_e32 v29, v29, v23
	v_mul_f32_e32 v62, 0xbf2c7751, v28
	v_mul_f32_e32 v63, 0xbf7ee86f, v28
	v_fmamk_f32 v67, v31, 0x3f6eb680, v38
	v_fma_f32 v38, 0x3f6eb680, v31, -v38
	v_add_f32_e32 v29, v29, v17
	v_fmamk_f32 v68, v31, 0x3f3d2fb0, v56
	v_fma_f32 v56, 0x3f3d2fb0, v31, -v56
	v_mul_f32_e32 v65, 0xbe3c28d5, v28
	v_mul_f32_e32 v66, 0x3f06c442, v28
	v_add_f32_e32 v29, v29, v13
	v_fmamk_f32 v69, v31, 0x3ee437d1, v57
	v_fma_f32 v57, 0x3ee437d1, v31, -v57
	v_fmamk_f32 v70, v31, 0x3dbcf732, v58
	v_fma_f32 v58, 0x3dbcf732, v31, -v58
	v_add_f32_e32 v29, v29, v7
	v_fmamk_f32 v71, v31, 0xbe8c1d8e, v59
	v_fma_f32 v59, 0xbe8c1d8e, v31, -v59
	v_fmamk_f32 v72, v31, 0xbf1a4643, v60
	v_fma_f32 v60, 0xbf1a4643, v31, -v60
	v_add_f32_e32 v29, v29, v9
	v_fmamk_f32 v73, v31, 0xbf59a7d5, v61
	v_fma_f32 v61, 0xbf59a7d5, v31, -v61
	v_fmamk_f32 v74, v31, 0xbf7ba420, v30
	v_fma_f32 v30, 0xbf7ba420, v31, -v30
	v_add_f32_e32 v29, v29, v11
	v_fmamk_f32 v31, v36, 0x3f3d2fb0, v62
	v_fma_f32 v62, 0x3f3d2fb0, v36, -v62
	v_fmamk_f32 v75, v36, 0x3dbcf732, v63
	v_fma_f32 v63, 0x3dbcf732, v36, -v63
	v_add_f32_e32 v29, v29, v15
	v_add_f32_e32 v67, v25, v67
	;; [unrolled: 1-line block ×23, first 2 shown]
	v_fma_f32 v62, 0xbf7ba420, v36, -v65
	v_mul_f32_e32 v64, 0xbf4c4adb, v28
	v_add_f32_e32 v29, v39, v29
	v_add_f32_e32 v39, v56, v63
	v_mul_f32_e32 v63, 0x3f763a35, v28
	v_add_f32_e32 v58, v58, v62
	v_sub_f32_e32 v20, v20, v34
	v_add_f32_e32 v29, v37, v29
	v_fmamk_f32 v37, v36, 0xbf7ba420, v65
	v_fma_f32 v65, 0xbf59a7d5, v36, -v66
	v_fmamk_f32 v62, v36, 0xbe8c1d8e, v63
	v_fma_f32 v63, 0xbe8c1d8e, v36, -v63
	;; [unrolled: 2-line block ×3, first 2 shown]
	v_add_f32_e32 v59, v59, v65
	v_mul_f32_e32 v65, 0x3f65296c, v28
	v_mul_f32_e32 v28, 0x3eb8f4ab, v28
	v_add_f32_e32 v60, v60, v63
	v_add_f32_e32 v21, v21, v35
	v_mul_f32_e32 v35, 0xbf65296c, v20
	v_fmamk_f32 v34, v36, 0x3ee437d1, v65
	v_fma_f32 v63, 0x3ee437d1, v36, -v65
	v_fmamk_f32 v65, v36, 0x3f6eb680, v28
	v_fma_f32 v28, 0x3f6eb680, v36, -v28
	v_add_f32_e32 v57, v57, v64
	v_fmamk_f32 v64, v36, 0xbf59a7d5, v66
	v_add_f32_e32 v36, v61, v63
	v_add_f32_e32 v61, v74, v65
	v_fmamk_f32 v63, v21, 0x3ee437d1, v35
	v_mul_f32_e32 v65, 0xbf4c4adb, v20
	v_add_f32_e32 v25, v25, v28
	v_fma_f32 v28, 0x3ee437d1, v21, -v35
	v_mul_f32_e32 v35, 0x3e3c28d5, v20
	v_add_f32_e32 v30, v30, v63
	v_fmamk_f32 v63, v21, 0xbf1a4643, v65
	v_fma_f32 v65, 0xbf1a4643, v21, -v65
	v_add_f32_e32 v28, v31, v28
	v_fmamk_f32 v31, v21, 0xbf7ba420, v35
	v_mul_f32_e32 v66, 0x3f763a35, v20
	v_fma_f32 v35, 0xbf7ba420, v21, -v35
	v_add_f32_e32 v38, v68, v75
	v_add_f32_e32 v56, v69, v76
	;; [unrolled: 1-line block ×3, first 2 shown]
	v_fma_f32 v65, 0xbe8c1d8e, v21, -v66
	v_add_f32_e32 v35, v57, v35
	v_mul_f32_e32 v57, 0xbeb8f4ab, v20
	v_add_f32_e32 v37, v70, v37
	v_add_f32_e32 v38, v38, v63
	;; [unrolled: 1-line block ×3, first 2 shown]
	v_fmamk_f32 v56, v21, 0xbe8c1d8e, v66
	v_mul_f32_e32 v63, 0x3f2c7751, v20
	v_add_f32_e32 v58, v58, v65
	v_fmamk_f32 v65, v21, 0x3f6eb680, v57
	v_mul_f32_e32 v66, 0xbf7ee86f, v20
	v_fma_f32 v57, 0x3f6eb680, v21, -v57
	v_mul_f32_e32 v20, 0xbf06c442, v20
	v_sub_f32_e32 v22, v22, v32
	v_add_f32_e32 v37, v37, v56
	v_fmamk_f32 v56, v21, 0x3f3d2fb0, v63
	v_fma_f32 v63, 0x3f3d2fb0, v21, -v63
	v_add_f32_e32 v57, v60, v57
	v_fma_f32 v32, 0x3dbcf732, v21, -v66
	v_fmamk_f32 v60, v21, 0xbf59a7d5, v20
	v_add_f32_e32 v23, v23, v33
	v_mul_f32_e32 v33, 0xbf7ee86f, v22
	v_fma_f32 v20, 0xbf59a7d5, v21, -v20
	v_add_f32_e32 v59, v59, v63
	v_fmamk_f32 v63, v21, 0x3dbcf732, v66
	v_add_f32_e32 v32, v36, v32
	v_add_f32_e32 v21, v61, v60
	v_mul_f32_e32 v36, 0xbe3c28d5, v22
	v_fmamk_f32 v60, v23, 0x3dbcf732, v33
	v_fma_f32 v33, 0x3dbcf732, v23, -v33
	v_add_f32_e32 v20, v25, v20
	v_mul_f32_e32 v25, 0x3f763a35, v22
	v_fmamk_f32 v61, v23, 0xbf7ba420, v36
	v_add_f32_e32 v30, v30, v60
	v_add_f32_e32 v28, v28, v33
	v_fma_f32 v33, 0xbf7ba420, v23, -v36
	v_fmamk_f32 v36, v23, 0xbe8c1d8e, v25
	v_mul_f32_e32 v60, 0x3eb8f4ab, v22
	v_fma_f32 v25, 0xbe8c1d8e, v23, -v25
	v_add_f32_e32 v38, v38, v61
	v_add_f32_e32 v33, v39, v33
	;; [unrolled: 1-line block ×3, first 2 shown]
	v_mul_f32_e32 v36, 0xbf65296c, v22
	v_fmamk_f32 v39, v23, 0x3f6eb680, v60
	v_add_f32_e32 v25, v35, v25
	v_fma_f32 v35, 0x3f6eb680, v23, -v60
	v_mul_f32_e32 v60, 0xbf06c442, v22
	v_fmamk_f32 v61, v23, 0x3ee437d1, v36
	v_fma_f32 v36, 0x3ee437d1, v23, -v36
	v_add_f32_e32 v34, v73, v34
	v_add_f32_e32 v35, v58, v35
	v_fma_f32 v58, 0xbf59a7d5, v23, -v60
	v_sub_f32_e32 v16, v16, v26
	v_add_f32_e32 v36, v59, v36
	v_mul_f32_e32 v59, 0x3f4c4adb, v22
	v_mul_f32_e32 v22, 0x3f2c7751, v22
	v_add_f32_e32 v34, v34, v63
	v_add_f32_e32 v57, v57, v58
	;; [unrolled: 1-line block ×3, first 2 shown]
	v_fmamk_f32 v26, v23, 0xbf1a4643, v59
	v_fma_f32 v58, 0xbf1a4643, v23, -v59
	v_fmamk_f32 v59, v23, 0x3f3d2fb0, v22
	v_mul_f32_e32 v27, 0xbf763a35, v16
	v_fma_f32 v22, 0x3f3d2fb0, v23, -v22
	v_add_f32_e32 v37, v37, v39
	v_fmamk_f32 v39, v23, 0xbf59a7d5, v60
	v_add_f32_e32 v26, v34, v26
	v_add_f32_e32 v23, v32, v58
	v_fmamk_f32 v32, v17, 0xbe8c1d8e, v27
	v_mul_f32_e32 v34, 0x3f06c442, v16
	v_add_f32_e32 v20, v20, v22
	v_fma_f32 v22, 0xbe8c1d8e, v17, -v27
	v_mul_f32_e32 v27, 0x3f2c7751, v16
	v_add_f32_e32 v62, v72, v62
	v_add_f32_e32 v30, v32, v30
	v_fmamk_f32 v32, v17, 0xbf59a7d5, v34
	v_fma_f32 v34, 0xbf59a7d5, v17, -v34
	v_add_f32_e32 v22, v22, v28
	v_fmamk_f32 v28, v17, 0x3f3d2fb0, v27
	v_mul_f32_e32 v58, 0xbf65296c, v16
	v_fma_f32 v27, 0x3f3d2fb0, v17, -v27
	v_add_f32_e32 v62, v62, v65
	v_add_f32_e32 v32, v32, v38
	;; [unrolled: 1-line block ×4, first 2 shown]
	v_fmamk_f32 v31, v17, 0x3ee437d1, v58
	v_mul_f32_e32 v34, 0xbe3c28d5, v16
	v_fma_f32 v38, 0x3ee437d1, v17, -v58
	v_add_f32_e32 v25, v27, v25
	v_mul_f32_e32 v27, 0x3f7ee86f, v16
	v_add_f32_e32 v39, v62, v39
	v_add_f32_e32 v31, v31, v37
	v_fmamk_f32 v37, v17, 0xbf7ba420, v34
	v_add_f32_e32 v35, v38, v35
	v_fma_f32 v34, 0xbf7ba420, v17, -v34
	v_fmamk_f32 v38, v17, 0x3dbcf732, v27
	v_mul_f32_e32 v58, 0xbeb8f4ab, v16
	v_mul_f32_e32 v16, 0xbf4c4adb, v16
	v_sub_f32_e32 v12, v12, v18
	v_add_f32_e32 v34, v34, v36
	v_add_f32_e32 v36, v38, v39
	v_fmamk_f32 v38, v17, 0x3f6eb680, v58
	v_add_f32_e32 v21, v21, v59
	v_fma_f32 v18, 0x3f6eb680, v17, -v58
	v_add_f32_e32 v13, v13, v19
	v_mul_f32_e32 v19, 0xbf4c4adb, v12
	v_add_f32_e32 v26, v38, v26
	v_fmamk_f32 v38, v17, 0xbf1a4643, v16
	v_fma_f32 v16, 0xbf1a4643, v17, -v16
	v_fma_f32 v27, 0x3dbcf732, v17, -v27
	v_add_f32_e32 v18, v18, v23
	v_fmamk_f32 v23, v13, 0xbf1a4643, v19
	v_add_f32_e32 v17, v38, v21
	v_mul_f32_e32 v21, 0x3f763a35, v12
	v_fma_f32 v19, 0xbf1a4643, v13, -v19
	v_add_f32_e32 v16, v16, v20
	v_mul_f32_e32 v20, 0xbeb8f4ab, v12
	v_add_f32_e32 v23, v23, v30
	v_fmamk_f32 v38, v13, 0xbe8c1d8e, v21
	v_add_f32_e32 v19, v19, v22
	v_fma_f32 v21, 0xbe8c1d8e, v13, -v21
	v_fmamk_f32 v22, v13, 0x3f6eb680, v20
	v_fma_f32 v20, 0x3f6eb680, v13, -v20
	v_add_f32_e32 v30, v38, v32
	v_mul_f32_e32 v32, 0xbf06c442, v12
	v_add_f32_e32 v21, v21, v33
	v_add_f32_e32 v22, v22, v28
	v_mul_f32_e32 v28, 0x3f7ee86f, v12
	v_add_f32_e32 v20, v20, v25
	v_fmamk_f32 v33, v13, 0xbf59a7d5, v32
	v_fma_f32 v25, 0xbf59a7d5, v13, -v32
	v_mul_f32_e32 v32, 0xbf2c7751, v12
	v_fmamk_f32 v38, v13, 0x3dbcf732, v28
	v_fma_f32 v28, 0x3dbcf732, v13, -v28
	v_add_f32_e32 v27, v27, v57
	v_add_f32_e32 v31, v33, v31
	v_fmamk_f32 v33, v13, 0x3f3d2fb0, v32
	v_fma_f32 v32, 0x3f3d2fb0, v13, -v32
	v_add_f32_e32 v28, v28, v34
	v_mul_f32_e32 v34, 0xbe3c28d5, v12
	v_mul_f32_e32 v12, 0x3f65296c, v12
	v_sub_f32_e32 v6, v6, v14
	v_add_f32_e32 v27, v32, v27
	v_add_f32_e32 v7, v7, v15
	v_fmamk_f32 v14, v13, 0xbf7ba420, v34
	v_fma_f32 v32, 0xbf7ba420, v13, -v34
	v_fmamk_f32 v34, v13, 0x3ee437d1, v12
	v_mul_f32_e32 v15, 0xbf06c442, v6
	v_fma_f32 v12, 0x3ee437d1, v13, -v12
	v_add_f32_e32 v14, v14, v26
	v_add_f32_e32 v13, v32, v18
	v_mul_f32_e32 v26, 0x3f65296c, v6
	v_fmamk_f32 v18, v7, 0xbf59a7d5, v15
	v_add_f32_e32 v12, v12, v16
	v_fma_f32 v15, 0xbf59a7d5, v7, -v15
	v_mul_f32_e32 v16, 0xbf7ee86f, v6
	v_mul_f32_e32 v32, 0x3f4c4adb, v6
	v_add_f32_e32 v18, v18, v23
	v_fmamk_f32 v23, v7, 0x3ee437d1, v26
	v_add_f32_e32 v15, v15, v19
	v_fmamk_f32 v19, v7, 0x3dbcf732, v16
	v_fma_f32 v16, 0x3dbcf732, v7, -v16
	v_add_f32_e32 v25, v25, v35
	v_fma_f32 v26, 0x3ee437d1, v7, -v26
	v_add_f32_e32 v23, v23, v30
	;; [unrolled: 2-line block ×3, first 2 shown]
	v_mul_f32_e32 v20, 0xbe3c28d5, v6
	v_add_f32_e32 v19, v19, v22
	v_fmamk_f32 v22, v7, 0xbf1a4643, v32
	v_mul_f32_e32 v32, 0x3f2c7751, v6
	v_add_f32_e32 v21, v26, v21
	v_mul_f32_e32 v26, 0xbeb8f4ab, v6
	v_add_f32_e32 v25, v30, v25
	v_fmamk_f32 v30, v7, 0xbf7ba420, v20
	v_fma_f32 v20, 0xbf7ba420, v7, -v20
	v_mul_f32_e32 v6, 0xbf763a35, v6
	v_sub_f32_e32 v8, v8, v10
	v_fma_f32 v10, 0x3f3d2fb0, v7, -v32
	v_add_f32_e32 v64, v71, v64
	v_add_f32_e32 v33, v33, v36
	;; [unrolled: 1-line block ×4, first 2 shown]
	v_fmamk_f32 v31, v7, 0x3f6eb680, v26
	v_fma_f32 v26, 0x3f6eb680, v7, -v26
	v_add_f32_e32 v20, v20, v27
	v_fmamk_f32 v27, v7, 0xbe8c1d8e, v6
	v_add_f32_e32 v9, v9, v11
	v_mul_f32_e32 v11, 0xbe3c28d5, v8
	v_fma_f32 v6, 0xbe8c1d8e, v7, -v6
	v_add_f32_e32 v10, v10, v13
	v_mul_f32_e32 v13, 0x3eb8f4ab, v8
	v_add_f32_e32 v56, v64, v56
	v_add_f32_e32 v26, v26, v28
	;; [unrolled: 1-line block ×3, first 2 shown]
	v_fmamk_f32 v30, v7, 0x3f3d2fb0, v32
	v_add_f32_e32 v7, v27, v17
	v_fmamk_f32 v17, v9, 0xbf7ba420, v11
	v_fma_f32 v11, 0xbf7ba420, v9, -v11
	v_add_f32_e32 v6, v6, v12
	v_mul_f32_e32 v12, 0xbf06c442, v8
	v_fmamk_f32 v27, v9, 0x3f6eb680, v13
	v_add_f32_e32 v56, v56, v61
	v_add_f32_e32 v11, v11, v15
	v_add_f32_e32 v17, v17, v18
	v_fmamk_f32 v15, v9, 0xbf59a7d5, v12
	v_fma_f32 v13, 0x3f6eb680, v9, -v13
	v_add_f32_e32 v18, v27, v23
	v_mul_f32_e32 v23, 0x3f2c7751, v8
	v_fma_f32 v12, 0xbf59a7d5, v9, -v12
	v_add_f32_e32 v37, v37, v56
	v_add_f32_e32 v15, v15, v19
	v_mul_f32_e32 v19, 0xbf4c4adb, v8
	v_add_f32_e32 v13, v13, v21
	v_fmamk_f32 v21, v9, 0x3f3d2fb0, v23
	v_add_f32_e32 v12, v12, v16
	v_fma_f32 v16, 0x3f3d2fb0, v9, -v23
	v_mul_f32_e32 v23, 0x3f65296c, v8
	v_add_f32_e32 v35, v38, v37
	v_fmamk_f32 v27, v9, 0xbf1a4643, v19
	v_fma_f32 v19, 0xbf1a4643, v9, -v19
	v_add_f32_e32 v21, v21, v22
	v_fmamk_f32 v22, v9, 0x3ee437d1, v23
	v_fma_f32 v23, 0x3ee437d1, v9, -v23
	v_add_f32_e32 v31, v31, v35
	v_add_f32_e32 v19, v19, v26
	v_mul_f32_e32 v26, 0xbf763a35, v8
	v_mul_f32_e32 v8, 0x3f7ee86f, v8
	v_add_f32_e32 v20, v23, v20
	v_lshlrev_b32_e32 v23, 6, v5
	v_add_f32_e32 v14, v30, v14
	v_add_f32_e32 v16, v16, v25
	;; [unrolled: 1-line block ×3, first 2 shown]
	v_fmamk_f32 v27, v9, 0xbe8c1d8e, v26
	v_add_f32_e32 v22, v22, v28
	v_fmamk_f32 v28, v9, 0x3dbcf732, v8
	v_fma_f32 v8, 0x3dbcf732, v9, -v8
	v_fma_f32 v26, 0xbe8c1d8e, v9, -v26
	v_add3_u32 v0, v55, v23, v0
	v_add_f32_e32 v9, v27, v14
	v_add_f32_e32 v7, v28, v7
	;; [unrolled: 1-line block ×4, first 2 shown]
	ds_write2_b32 v0, v29, v17 offset1:1
	ds_write2_b32 v0, v18, v15 offset0:2 offset1:3
	ds_write2_b32 v0, v21, v25 offset0:4 offset1:5
	;; [unrolled: 1-line block ×7, first 2 shown]
	ds_write_b32 v0, v11 offset:64
.LBB0_14:
	s_or_b32 exec_lo, exec_lo, s1
	v_mul_u32_u24_e32 v0, 6, v5
	s_load_dwordx2 s[0:1], s[4:5], 0x0
	s_waitcnt lgkmcnt(0)
	s_barrier
	buffer_gl0_inv
	v_lshlrev_b32_e32 v0, 3, v0
	s_clause 0x2
	global_load_dwordx4 v[6:9], v0, s[12:13]
	global_load_dwordx4 v[10:13], v0, s[12:13] offset:16
	global_load_dwordx4 v[14:17], v0, s[12:13] offset:32
	ds_read2_b32 v[18:19], v24 offset0:17 offset1:34
	ds_read2_b32 v[20:21], v24 offset0:51 offset1:68
	;; [unrolled: 1-line block ×6, first 2 shown]
	ds_read_b32 v0, v52
	ds_read_b32 v31, v24 offset:884
	s_waitcnt vmcnt(0) lgkmcnt(0)
	s_barrier
	buffer_gl0_inv
	v_mul_f32_e32 v32, v19, v7
	v_mul_f32_e32 v33, v41, v7
	v_mul_f32_e32 v34, v21, v9
	v_mul_f32_e32 v39, v47, v13
	v_mul_f32_e32 v55, v28, v15
	v_mul_f32_e32 v56, v45, v15
	v_mul_f32_e32 v57, v30, v17
	v_mul_f32_e32 v35, v51, v9
	v_mul_f32_e32 v36, v23, v11
	v_mul_f32_e32 v37, v49, v11
	v_mul_f32_e32 v38, v26, v13
	v_mul_f32_e32 v58, v43, v17
	v_mul_f32_e32 v59, v20, v7
	v_mul_f32_e32 v7, v50, v7
	v_mul_f32_e32 v60, v22, v9
	v_mul_f32_e32 v9, v48, v9
	v_mul_f32_e32 v61, v25, v11
	v_mul_f32_e32 v11, v46, v11
	v_mul_f32_e32 v62, v27, v13
	v_mul_f32_e32 v13, v44, v13
	v_mul_f32_e32 v63, v29, v15
	v_mul_f32_e32 v15, v42, v15
	v_mul_f32_e32 v64, v31, v17
	v_mul_f32_e32 v17, v54, v17
	v_fma_f32 v32, v41, v6, -v32
	v_fmac_f32_e32 v33, v19, v6
	v_fma_f32 v19, v51, v8, -v34
	v_fmac_f32_e32 v39, v26, v12
	;; [unrolled: 2-line block ×12, first 2 shown]
	v_add_f32_e32 v16, v32, v28
	v_add_f32_e32 v27, v19, v26
	;; [unrolled: 1-line block ×3, first 2 shown]
	v_sub_f32_e32 v22, v32, v28
	v_sub_f32_e32 v25, v33, v58
	v_add_f32_e32 v28, v35, v56
	v_add_f32_e32 v29, v21, v23
	;; [unrolled: 1-line block ×5, first 2 shown]
	v_sub_f32_e32 v7, v7, v17
	v_add_f32_e32 v17, v6, v12
	v_sub_f32_e32 v19, v19, v26
	v_sub_f32_e32 v26, v35, v56
	;; [unrolled: 1-line block ×5, first 2 shown]
	v_add_f32_e32 v30, v9, v15
	v_sub_f32_e32 v6, v6, v12
	v_sub_f32_e32 v9, v9, v15
	v_add_f32_e32 v12, v8, v10
	v_add_f32_e32 v15, v11, v13
	v_sub_f32_e32 v8, v10, v8
	v_sub_f32_e32 v10, v13, v11
	v_add_f32_e32 v11, v27, v16
	v_add_f32_e32 v13, v28, v20
	v_sub_f32_e32 v34, v27, v16
	v_sub_f32_e32 v35, v28, v20
	;; [unrolled: 1-line block ×6, first 2 shown]
	v_add_f32_e32 v41, v17, v32
	v_add_f32_e32 v36, v21, v19
	;; [unrolled: 1-line block ×3, first 2 shown]
	v_sub_f32_e32 v38, v21, v19
	v_sub_f32_e32 v39, v23, v26
	;; [unrolled: 1-line block ×4, first 2 shown]
	v_add_f32_e32 v42, v30, v33
	v_add_f32_e32 v45, v8, v6
	;; [unrolled: 1-line block ×3, first 2 shown]
	v_sub_f32_e32 v47, v8, v6
	v_sub_f32_e32 v48, v10, v9
	;; [unrolled: 1-line block ×4, first 2 shown]
	v_add_f32_e32 v11, v29, v11
	v_sub_f32_e32 v43, v17, v32
	v_sub_f32_e32 v44, v30, v33
	;; [unrolled: 1-line block ×5, first 2 shown]
	v_add_f32_e32 v13, v31, v13
	v_mul_f32_e32 v16, 0x3f4a47b2, v16
	v_mul_f32_e32 v20, 0x3f4a47b2, v20
	;; [unrolled: 1-line block ×4, first 2 shown]
	v_add_f32_e32 v12, v12, v41
	v_sub_f32_e32 v21, v22, v21
	v_sub_f32_e32 v23, v25, v23
	v_sub_f32_e32 v30, v15, v30
	v_sub_f32_e32 v8, v14, v8
	v_sub_f32_e32 v10, v7, v10
	v_add_f32_e32 v22, v36, v22
	v_add_f32_e32 v25, v37, v25
	v_mul_f32_e32 v36, 0xbf08b237, v38
	v_mul_f32_e32 v37, 0xbf08b237, v39
	;; [unrolled: 1-line block ×4, first 2 shown]
	v_add_f32_e32 v15, v15, v42
	v_add_f32_e32 v14, v45, v14
	v_add_f32_e32 v7, v46, v7
	v_mul_f32_e32 v45, 0xbf08b237, v47
	v_mul_f32_e32 v46, 0xbf08b237, v48
	v_mul_f32_e32 v47, 0x3f5ff5aa, v6
	v_mul_f32_e32 v48, 0x3f5ff5aa, v9
	v_add_f32_e32 v49, v53, v11
	v_mul_f32_e32 v32, 0x3f4a47b2, v32
	v_mul_f32_e32 v33, 0x3f4a47b2, v33
	;; [unrolled: 1-line block ×3, first 2 shown]
	v_add_f32_e32 v50, v0, v13
	v_fmamk_f32 v0, v27, 0x3d64c772, v16
	v_fmamk_f32 v27, v28, 0x3d64c772, v20
	v_fma_f32 v28, 0x3f3bfb3b, v34, -v29
	v_fma_f32 v29, 0x3f3bfb3b, v35, -v31
	v_fma_f32 v20, 0xbf3bfb3b, v35, -v20
	v_add_f32_e32 v35, v40, v12
	v_mul_f32_e32 v42, 0x3d64c772, v30
	v_fma_f32 v16, 0xbf3bfb3b, v34, -v16
	v_fmamk_f32 v31, v21, 0x3eae86e6, v36
	v_fmamk_f32 v34, v23, 0x3eae86e6, v37
	v_fma_f32 v19, 0x3f5ff5aa, v19, -v36
	v_fma_f32 v21, 0xbeae86e6, v21, -v38
	;; [unrolled: 1-line block ×3, first 2 shown]
	v_add_f32_e32 v36, v18, v15
	v_fmamk_f32 v38, v8, 0x3eae86e6, v45
	v_fmamk_f32 v39, v10, 0x3eae86e6, v46
	v_fma_f32 v40, 0xbeae86e6, v8, -v47
	v_fma_f32 v8, 0xbeae86e6, v10, -v48
	v_fmamk_f32 v10, v11, 0xbf955555, v49
	v_fma_f32 v26, 0x3f5ff5aa, v26, -v37
	v_fma_f32 v6, 0x3f5ff5aa, v6, -v45
	v_fmamk_f32 v17, v17, 0x3d64c772, v32
	v_fmamk_f32 v18, v30, 0x3d64c772, v33
	v_fma_f32 v30, 0x3f3bfb3b, v43, -v41
	v_fma_f32 v32, 0xbf3bfb3b, v43, -v32
	;; [unrolled: 1-line block ×3, first 2 shown]
	v_fmamk_f32 v11, v13, 0xbf955555, v50
	v_fmamk_f32 v12, v12, 0xbf955555, v35
	v_fma_f32 v37, 0x3f3bfb3b, v44, -v42
	v_fma_f32 v33, 0xbf3bfb3b, v44, -v33
	v_fmac_f32_e32 v34, 0x3ee1c552, v25
	v_fmamk_f32 v13, v15, 0xbf955555, v36
	v_add_f32_e32 v0, v0, v10
	v_fmac_f32_e32 v26, 0x3ee1c552, v25
	v_fmac_f32_e32 v23, 0x3ee1c552, v25
	;; [unrolled: 1-line block ×5, first 2 shown]
	v_add_f32_e32 v14, v28, v10
	v_add_f32_e32 v10, v16, v10
	v_fmac_f32_e32 v31, 0x3ee1c552, v22
	v_fmac_f32_e32 v19, 0x3ee1c552, v22
	;; [unrolled: 1-line block ×6, first 2 shown]
	v_add_f32_e32 v7, v27, v11
	v_add_f32_e32 v15, v29, v11
	;; [unrolled: 1-line block ×11, first 2 shown]
	v_sub_f32_e32 v29, v14, v26
	v_add_f32_e32 v14, v26, v14
	v_sub_f32_e32 v10, v10, v23
	v_sub_f32_e32 v0, v0, v34
	;; [unrolled: 1-line block ×4, first 2 shown]
	v_add_f32_e32 v30, v19, v15
	v_sub_f32_e32 v26, v15, v19
	v_add_f32_e32 v21, v21, v11
	v_add_f32_e32 v23, v31, v7
	;; [unrolled: 1-line block ×4, first 2 shown]
	v_sub_f32_e32 v15, v17, v9
	v_add_f32_e32 v9, v9, v17
	v_sub_f32_e32 v8, v12, v8
	v_sub_f32_e32 v12, v16, v39
	ds_write2_b32 v24, v49, v13 offset1:17
	ds_write2_b32 v24, v18, v29 offset0:34 offset1:51
	ds_write2_b32 v24, v14, v10 offset0:68 offset1:85
	;; [unrolled: 1-line block ×6, first 2 shown]
	s_waitcnt lgkmcnt(0)
	s_barrier
	buffer_gl0_inv
	ds_read2_b32 v[13:14], v24 offset0:119 offset1:136
	ds_read2_b32 v[7:8], v24 offset0:17 offset1:34
	;; [unrolled: 1-line block ×6, first 2 shown]
	ds_read_b32 v0, v52
	ds_read_b32 v19, v24 offset:884
	v_sub_f32_e32 v29, v20, v38
	v_sub_f32_e32 v31, v25, v40
	v_add_f32_e32 v32, v6, v22
	v_sub_f32_e32 v6, v22, v6
	v_add_f32_e32 v22, v40, v25
	v_add_f32_e32 v20, v38, v20
	s_waitcnt lgkmcnt(0)
	s_barrier
	buffer_gl0_inv
	ds_write2_b32 v24, v50, v27 offset1:17
	ds_write2_b32 v24, v28, v30 offset0:34 offset1:51
	ds_write2_b32 v24, v26, v21 offset0:68 offset1:85
	;; [unrolled: 1-line block ×6, first 2 shown]
	s_waitcnt lgkmcnt(0)
	s_barrier
	buffer_gl0_inv
	s_and_saveexec_b32 s4, vcc_lo
	s_cbranch_execz .LBB0_16
; %bb.15:
	v_mov_b32_e32 v6, 0
	v_mul_lo_u32 v51, s1, v3
	v_mul_lo_u32 v57, s0, v4
	v_mad_u64_u32 v[3:4], null, s0, v3, 0
	v_lshlrev_b64 v[20:21], 3, v[5:6]
	v_add_nc_u32_e32 v59, 0x77, v5
	v_add_nc_u32_e32 v60, 17, v5
	;; [unrolled: 1-line block ×5, first 2 shown]
	v_add_co_u32 v20, vcc_lo, s12, v20
	v_add_co_ci_u32_e32 v21, vcc_lo, s13, v21, vcc_lo
	v_add_nc_u32_e32 v37, 51, v5
	v_mad_u64_u32 v[35:36], null, s2, v5, 0
	s_clause 0x6
	global_load_dwordx2 v[22:23], v[20:21], off offset:1632
	global_load_dwordx2 v[25:26], v[20:21], off offset:1496
	;; [unrolled: 1-line block ×7, first 2 shown]
	v_mad_u64_u32 v[49:50], null, s2, v59, 0
	v_add_nc_u32_e32 v38, 0x44, v5
	v_mad_u64_u32 v[53:54], null, s2, v60, 0
	v_mad_u64_u32 v[55:56], null, s2, v61, 0
	v_add3_u32 v4, v4, v57, v51
	v_mul_hi_u32 v51, 0x44d72045, v39
	v_add_nc_u32_e32 v40, 0x66, v5
	v_mul_hi_u32 v62, 0x44d72045, v6
	v_mul_hi_u32 v63, 0x44d72045, v37
	ds_read2_b32 v[41:42], v24 offset0:85 offset1:102
	ds_read2_b32 v[43:44], v24 offset0:187 offset1:204
	;; [unrolled: 1-line block ×4, first 2 shown]
	v_mul_hi_u32 v64, 0x44d72045, v38
	v_mul_hi_u32 v65, 0x44d72045, v40
	v_mad_u64_u32 v[57:58], null, s3, v5, v[36:37]
	v_mov_b32_e32 v5, v50
	v_mov_b32_e32 v36, v54
	;; [unrolled: 1-line block ×3, first 2 shown]
	v_lshrrev_b32_e32 v51, 5, v51
	v_lshlrev_b64 v[3:4], 3, v[3:4]
	v_lshrrev_b32_e32 v54, 5, v62
	v_lshrrev_b32_e32 v56, 5, v63
	v_mad_u64_u32 v[58:59], null, s3, v59, v[5:6]
	v_lshrrev_b32_e32 v63, 5, v64
	v_mad_u64_u32 v[59:60], null, s3, v60, v[36:37]
	v_mad_u64_u32 v[60:61], null, s3, v61, v[50:51]
	v_lshlrev_b64 v[1:2], 3, v[1:2]
	v_lshrrev_b32_e32 v64, 5, v65
	v_mad_u64_u32 v[5:6], null, 0x77, v54, v[6:7]
	v_mad_u64_u32 v[61:62], null, 0x77, v56, v[37:38]
	v_add_co_u32 v3, vcc_lo, s10, v3
	v_mad_u64_u32 v[37:38], null, 0x77, v63, v[38:39]
	v_add_co_ci_u32_e32 v4, vcc_lo, s11, v4, vcc_lo
	v_mov_b32_e32 v36, v57
	v_mad_u64_u32 v[38:39], null, 0x77, v51, v[39:40]
	s_waitcnt lgkmcnt(3)
	v_mad_u64_u32 v[39:40], null, 0x77, v64, v[40:41]
	v_add_co_u32 v83, vcc_lo, v3, v1
	v_add_co_ci_u32_e32 v84, vcc_lo, v4, v2, vcc_lo
	v_lshlrev_b64 v[1:2], 3, v[35:36]
	v_add_nc_u32_e32 v51, 0x77, v5
	v_mad_u64_u32 v[35:36], null, s2, v61, 0
	v_mov_b32_e32 v50, v58
	v_mov_b32_e32 v54, v59
	v_mad_u64_u32 v[3:4], null, s2, v5, 0
	v_mov_b32_e32 v56, v60
	v_mad_u64_u32 v[57:58], null, s2, v37, 0
	v_mad_u64_u32 v[59:60], null, s2, v38, 0
	;; [unrolled: 1-line block ×4, first 2 shown]
	v_add_nc_u32_e32 v77, 0x77, v61
	v_add_nc_u32_e32 v78, 0x77, v37
	;; [unrolled: 1-line block ×4, first 2 shown]
	v_mov_b32_e32 v6, v36
	v_mad_u64_u32 v[66:67], null, s2, v77, 0
	v_mov_b32_e32 v36, v58
	v_mov_b32_e32 v40, v60
	v_mad_u64_u32 v[4:5], null, s3, v5, v[4:5]
	v_mad_u64_u32 v[68:69], null, s2, v78, 0
	;; [unrolled: 1-line block ×4, first 2 shown]
	v_mov_b32_e32 v5, v63
	v_mad_u64_u32 v[60:61], null, s3, v61, v[6:7]
	v_mov_b32_e32 v6, v65
	v_mad_u64_u32 v[74:75], null, s3, v37, v[36:37]
	v_mad_u64_u32 v[37:38], null, s3, v38, v[40:41]
	;; [unrolled: 1-line block ×3, first 2 shown]
	v_mov_b32_e32 v36, v67
	v_mov_b32_e32 v38, v69
	;; [unrolled: 1-line block ×3, first 2 shown]
	v_mad_u64_u32 v[75:76], null, s3, v51, v[6:7]
	v_mov_b32_e32 v6, v73
	v_lshlrev_b64 v[49:50], 3, v[49:50]
	v_lshlrev_b64 v[53:54], 3, v[53:54]
	v_add_co_u32 v1, vcc_lo, v83, v1
	v_mad_u64_u32 v[76:77], null, s3, v77, v[36:37]
	v_mad_u64_u32 v[77:78], null, s3, v78, v[38:39]
	;; [unrolled: 1-line block ×3, first 2 shown]
	v_add_co_ci_u32_e32 v2, vcc_lo, v84, v2, vcc_lo
	ds_read2_b32 v[78:79], v24 offset0:17 offset1:34
	v_mad_u64_u32 v[5:6], null, s3, v82, v[6:7]
	ds_read2_b32 v[81:82], v24 offset0:119 offset1:136
	ds_read_b32 v24, v24 offset:884
	ds_read_b32 v85, v52
	v_lshlrev_b64 v[55:56], 3, v[55:56]
	v_add_co_u32 v49, vcc_lo, v83, v49
	v_mov_b32_e32 v36, v60
	v_add_co_ci_u32_e32 v50, vcc_lo, v84, v50, vcc_lo
	v_add_co_u32 v53, vcc_lo, v83, v53
	v_lshlrev_b64 v[3:4], 3, v[3:4]
	v_mov_b32_e32 v58, v74
	v_add_co_ci_u32_e32 v54, vcc_lo, v84, v54, vcc_lo
	v_add_co_u32 v55, vcc_lo, v83, v55
	v_lshlrev_b64 v[35:36], 3, v[35:36]
	v_mov_b32_e32 v60, v37
	v_add_co_ci_u32_e32 v56, vcc_lo, v84, v56, vcc_lo
	v_lshlrev_b64 v[37:38], 3, v[57:58]
	v_add_co_u32 v3, vcc_lo, v83, v3
	v_mov_b32_e32 v63, v39
	v_add_co_ci_u32_e32 v4, vcc_lo, v84, v4, vcc_lo
	v_lshlrev_b64 v[39:40], 3, v[59:60]
	v_add_co_u32 v35, vcc_lo, v83, v35
	v_mov_b32_e32 v65, v75
	v_mov_b32_e32 v67, v76
	v_mov_b32_e32 v69, v77
	v_mov_b32_e32 v71, v80
	v_add_co_ci_u32_e32 v36, vcc_lo, v84, v36, vcc_lo
	v_lshlrev_b64 v[51:52], 3, v[62:63]
	v_add_co_u32 v37, vcc_lo, v83, v37
	v_add_co_ci_u32_e32 v38, vcc_lo, v84, v38, vcc_lo
	v_mov_b32_e32 v73, v5
	v_lshlrev_b64 v[5:6], 3, v[64:65]
	v_lshlrev_b64 v[57:58], 3, v[66:67]
	;; [unrolled: 1-line block ×4, first 2 shown]
	v_add_co_u32 v39, vcc_lo, v83, v39
	v_add_co_ci_u32_e32 v40, vcc_lo, v84, v40, vcc_lo
	v_add_co_u32 v51, vcc_lo, v83, v51
	v_add_co_ci_u32_e32 v52, vcc_lo, v84, v52, vcc_lo
	;; [unrolled: 2-line block ×4, first 2 shown]
	v_lshlrev_b64 v[63:64], 3, v[72:73]
	v_add_co_u32 v59, vcc_lo, v83, v59
	v_add_co_ci_u32_e32 v60, vcc_lo, v84, v60, vcc_lo
	v_add_co_u32 v61, vcc_lo, v83, v61
	v_add_co_ci_u32_e32 v62, vcc_lo, v84, v62, vcc_lo
	;; [unrolled: 2-line block ×3, first 2 shown]
	s_waitcnt vmcnt(6)
	v_mul_f32_e32 v65, v19, v23
	s_waitcnt lgkmcnt(1)
	v_mul_f32_e32 v23, v24, v23
	s_waitcnt vmcnt(5)
	v_mul_f32_e32 v66, v18, v26
	v_mul_f32_e32 v26, v44, v26
	s_waitcnt vmcnt(4)
	v_mul_f32_e32 v67, v17, v28
	;; [unrolled: 3-line block ×5, first 2 shown]
	v_mul_f32_e32 v21, v81, v21
	v_mul_f32_e32 v68, v16, v30
	;; [unrolled: 1-line block ×3, first 2 shown]
	v_fma_f32 v19, v19, v22, -v23
	v_fmac_f32_e32 v66, v44, v25
	v_fma_f32 v18, v18, v25, -v26
	v_fmac_f32_e32 v67, v43, v27
	v_fma_f32 v17, v17, v27, -v28
	v_fma_f32 v23, v15, v31, -v32
	;; [unrolled: 1-line block ×3, first 2 shown]
	v_fmac_f32_e32 v71, v81, v20
	v_fma_f32 v27, v13, v20, -v21
	v_fmac_f32_e32 v70, v82, v33
	v_fmac_f32_e32 v65, v24, v22
	v_fma_f32 v22, v16, v29, -v30
	v_fmac_f32_e32 v69, v47, v31
	v_fmac_f32_e32 v68, v48, v29
	v_sub_f32_e32 v21, v8, v23
	v_sub_f32_e32 v23, v7, v25
	s_waitcnt lgkmcnt(0)
	v_sub_f32_e32 v26, v85, v71
	v_sub_f32_e32 v25, v0, v27
	;; [unrolled: 1-line block ×12, first 2 shown]
	v_fma_f32 v32, v85, 2.0, -v26
	v_fma_f32 v31, v0, 2.0, -v25
	;; [unrolled: 1-line block ×14, first 2 shown]
	global_store_dwordx2 v[1:2], v[31:32], off
	global_store_dwordx2 v[49:50], v[25:26], off
	;; [unrolled: 1-line block ×14, first 2 shown]
.LBB0_16:
	s_endpgm
	.section	.rodata,"a",@progbits
	.p2align	6, 0x0
	.amdhsa_kernel fft_rtc_fwd_len238_factors_17_7_2_wgs_51_tpt_17_halfLds_sp_op_CI_CI_sbrr_dirReg
		.amdhsa_group_segment_fixed_size 0
		.amdhsa_private_segment_fixed_size 0
		.amdhsa_kernarg_size 104
		.amdhsa_user_sgpr_count 6
		.amdhsa_user_sgpr_private_segment_buffer 1
		.amdhsa_user_sgpr_dispatch_ptr 0
		.amdhsa_user_sgpr_queue_ptr 0
		.amdhsa_user_sgpr_kernarg_segment_ptr 1
		.amdhsa_user_sgpr_dispatch_id 0
		.amdhsa_user_sgpr_flat_scratch_init 0
		.amdhsa_user_sgpr_private_segment_size 0
		.amdhsa_wavefront_size32 1
		.amdhsa_uses_dynamic_stack 0
		.amdhsa_system_sgpr_private_segment_wavefront_offset 0
		.amdhsa_system_sgpr_workgroup_id_x 1
		.amdhsa_system_sgpr_workgroup_id_y 0
		.amdhsa_system_sgpr_workgroup_id_z 0
		.amdhsa_system_sgpr_workgroup_info 0
		.amdhsa_system_vgpr_workitem_id 0
		.amdhsa_next_free_vgpr 86
		.amdhsa_next_free_sgpr 31
		.amdhsa_reserve_vcc 1
		.amdhsa_reserve_flat_scratch 0
		.amdhsa_float_round_mode_32 0
		.amdhsa_float_round_mode_16_64 0
		.amdhsa_float_denorm_mode_32 3
		.amdhsa_float_denorm_mode_16_64 3
		.amdhsa_dx10_clamp 1
		.amdhsa_ieee_mode 1
		.amdhsa_fp16_overflow 0
		.amdhsa_workgroup_processor_mode 1
		.amdhsa_memory_ordered 1
		.amdhsa_forward_progress 0
		.amdhsa_shared_vgpr_count 0
		.amdhsa_exception_fp_ieee_invalid_op 0
		.amdhsa_exception_fp_denorm_src 0
		.amdhsa_exception_fp_ieee_div_zero 0
		.amdhsa_exception_fp_ieee_overflow 0
		.amdhsa_exception_fp_ieee_underflow 0
		.amdhsa_exception_fp_ieee_inexact 0
		.amdhsa_exception_int_div_zero 0
	.end_amdhsa_kernel
	.text
.Lfunc_end0:
	.size	fft_rtc_fwd_len238_factors_17_7_2_wgs_51_tpt_17_halfLds_sp_op_CI_CI_sbrr_dirReg, .Lfunc_end0-fft_rtc_fwd_len238_factors_17_7_2_wgs_51_tpt_17_halfLds_sp_op_CI_CI_sbrr_dirReg
                                        ; -- End function
	.section	.AMDGPU.csdata,"",@progbits
; Kernel info:
; codeLenInByte = 10668
; NumSgprs: 33
; NumVgprs: 86
; ScratchSize: 0
; MemoryBound: 0
; FloatMode: 240
; IeeeMode: 1
; LDSByteSize: 0 bytes/workgroup (compile time only)
; SGPRBlocks: 4
; VGPRBlocks: 10
; NumSGPRsForWavesPerEU: 33
; NumVGPRsForWavesPerEU: 86
; Occupancy: 10
; WaveLimiterHint : 1
; COMPUTE_PGM_RSRC2:SCRATCH_EN: 0
; COMPUTE_PGM_RSRC2:USER_SGPR: 6
; COMPUTE_PGM_RSRC2:TRAP_HANDLER: 0
; COMPUTE_PGM_RSRC2:TGID_X_EN: 1
; COMPUTE_PGM_RSRC2:TGID_Y_EN: 0
; COMPUTE_PGM_RSRC2:TGID_Z_EN: 0
; COMPUTE_PGM_RSRC2:TIDIG_COMP_CNT: 0
	.text
	.p2alignl 6, 3214868480
	.fill 48, 4, 3214868480
	.type	__hip_cuid_cf3d8ab01d54389e,@object ; @__hip_cuid_cf3d8ab01d54389e
	.section	.bss,"aw",@nobits
	.globl	__hip_cuid_cf3d8ab01d54389e
__hip_cuid_cf3d8ab01d54389e:
	.byte	0                               ; 0x0
	.size	__hip_cuid_cf3d8ab01d54389e, 1

	.ident	"AMD clang version 19.0.0git (https://github.com/RadeonOpenCompute/llvm-project roc-6.4.0 25133 c7fe45cf4b819c5991fe208aaa96edf142730f1d)"
	.section	".note.GNU-stack","",@progbits
	.addrsig
	.addrsig_sym __hip_cuid_cf3d8ab01d54389e
	.amdgpu_metadata
---
amdhsa.kernels:
  - .args:
      - .actual_access:  read_only
        .address_space:  global
        .offset:         0
        .size:           8
        .value_kind:     global_buffer
      - .offset:         8
        .size:           8
        .value_kind:     by_value
      - .actual_access:  read_only
        .address_space:  global
        .offset:         16
        .size:           8
        .value_kind:     global_buffer
      - .actual_access:  read_only
        .address_space:  global
        .offset:         24
        .size:           8
        .value_kind:     global_buffer
      - .actual_access:  read_only
        .address_space:  global
        .offset:         32
        .size:           8
        .value_kind:     global_buffer
      - .offset:         40
        .size:           8
        .value_kind:     by_value
      - .actual_access:  read_only
        .address_space:  global
        .offset:         48
        .size:           8
        .value_kind:     global_buffer
      - .actual_access:  read_only
        .address_space:  global
        .offset:         56
        .size:           8
        .value_kind:     global_buffer
      - .offset:         64
        .size:           4
        .value_kind:     by_value
      - .actual_access:  read_only
        .address_space:  global
        .offset:         72
        .size:           8
        .value_kind:     global_buffer
      - .actual_access:  read_only
        .address_space:  global
        .offset:         80
        .size:           8
        .value_kind:     global_buffer
      - .actual_access:  read_only
        .address_space:  global
        .offset:         88
        .size:           8
        .value_kind:     global_buffer
      - .actual_access:  write_only
        .address_space:  global
        .offset:         96
        .size:           8
        .value_kind:     global_buffer
    .group_segment_fixed_size: 0
    .kernarg_segment_align: 8
    .kernarg_segment_size: 104
    .language:       OpenCL C
    .language_version:
      - 2
      - 0
    .max_flat_workgroup_size: 51
    .name:           fft_rtc_fwd_len238_factors_17_7_2_wgs_51_tpt_17_halfLds_sp_op_CI_CI_sbrr_dirReg
    .private_segment_fixed_size: 0
    .sgpr_count:     33
    .sgpr_spill_count: 0
    .symbol:         fft_rtc_fwd_len238_factors_17_7_2_wgs_51_tpt_17_halfLds_sp_op_CI_CI_sbrr_dirReg.kd
    .uniform_work_group_size: 1
    .uses_dynamic_stack: false
    .vgpr_count:     86
    .vgpr_spill_count: 0
    .wavefront_size: 32
    .workgroup_processor_mode: 1
amdhsa.target:   amdgcn-amd-amdhsa--gfx1030
amdhsa.version:
  - 1
  - 2
...

	.end_amdgpu_metadata
